;; amdgpu-corpus repo=ggml-org/llama.cpp kind=compiled arch=gfx906 opt=O3
	.amdgcn_target "amdgcn-amd-amdhsa--gfx906"
	.amdhsa_code_object_version 6
	.section	.text._ZL7pad_f32PKfmmmmPfiiiiiiiiiiiib,"axG",@progbits,_ZL7pad_f32PKfmmmmPfiiiiiiiiiiiib,comdat
	.globl	_ZL7pad_f32PKfmmmmPfiiiiiiiiiiiib ; -- Begin function _ZL7pad_f32PKfmmmmPfiiiiiiiiiiiib
	.p2align	8
	.type	_ZL7pad_f32PKfmmmmPfiiiiiiiiiiiib,@function
_ZL7pad_f32PKfmmmmPfiiiiiiiiiiiib:      ; @_ZL7pad_f32PKfmmmmPfiiiiiiiiiiiib
; %bb.0:
	s_load_dwordx4 s[28:31], s[4:5], 0x50
	s_load_dword s0, s[4:5], 0x74
	s_waitcnt lgkmcnt(0)
	v_cvt_f32_u32_e32 v1, s30
	s_and_b32 s0, s0, 0xffff
	s_sub_i32 s1, 0, s30
	s_mul_i32 s6, s6, s0
	v_rcp_iflag_f32_e32 v1, v1
	v_add_u32_e32 v8, s6, v0
	v_cmp_gt_i32_e32 vcc, s28, v8
	v_mul_f32_e32 v1, 0x4f7ffffe, v1
	v_cvt_u32_f32_e32 v1, v1
	v_readfirstlane_b32 s0, v1
	s_mul_i32 s1, s1, s0
	s_mul_hi_u32 s1, s0, s1
	s_add_i32 s0, s0, s1
	s_mul_hi_u32 s0, s8, s0
	s_mul_i32 s1, s0, s30
	s_sub_i32 s1, s8, s1
	s_add_i32 s2, s0, 1
	s_sub_i32 s3, s1, s30
	s_cmp_ge_u32 s1, s30
	s_cselect_b32 s0, s2, s0
	s_cselect_b32 s1, s3, s1
	s_add_i32 s2, s0, 1
	s_cmp_ge_u32 s1, s30
	s_cselect_b32 s6, s2, s0
	s_mul_i32 s0, s6, s30
	s_sub_i32 s9, s8, s0
	s_cmp_lt_i32 s7, s29
	s_cselect_b64 s[0:1], -1, 0
	s_and_b64 s[0:1], s[0:1], vcc
	s_cmp_lt_i32 s9, s30
	s_cselect_b64 s[2:3], -1, 0
	s_and_b64 s[0:1], s[2:3], s[0:1]
	s_cmp_lt_i32 s6, s31
	s_cselect_b64 s[2:3], -1, 0
	s_and_b64 s[0:1], s[2:3], s[0:1]
	s_and_saveexec_b64 s[2:3], s[0:1]
	s_cbranch_execz .LBB0_23
; %bb.1:
	s_load_dword s0, s[4:5], 0x60
	s_load_dwordx8 s[20:27], s[4:5], 0x30
	s_load_dwordx8 s[12:19], s[4:5], 0x0
	s_load_dwordx4 s[36:39], s[4:5], 0x20
	s_waitcnt lgkmcnt(0)
	s_bitcmp1_b32 s0, 0
	s_cselect_b64 s[0:1], -1, 0
	s_and_b64 vcc, exec, s[0:1]
	s_cbranch_vccnz .LBB0_5
; %bb.2:
	s_sub_i32 s0, s28, s21
	s_cmp_ge_i32 s7, s22
	v_cmp_le_i32_e32 vcc, s20, v8
	s_cselect_b64 s[2:3], -1, 0
	v_cmp_gt_i32_e64 s[0:1], s0, v8
	s_and_b64 s[2:3], vcc, s[2:3]
	s_and_b64 s[0:1], s[2:3], s[0:1]
	s_sub_i32 s2, s29, s23
	s_cmp_lt_i32 s7, s2
	s_cselect_b64 s[2:3], -1, 0
	s_and_b64 s[0:1], s[0:1], s[2:3]
	s_cmp_ge_i32 s9, s24
	s_cselect_b64 s[2:3], -1, 0
	s_and_b64 s[0:1], s[2:3], s[0:1]
	s_sub_i32 s2, s30, s25
	s_cmp_lt_i32 s9, s2
	s_cselect_b64 s[2:3], -1, 0
	s_and_b64 s[0:1], s[0:1], s[2:3]
	s_cmp_ge_i32 s6, s26
	s_cselect_b64 s[2:3], -1, 0
	s_and_b64 s[0:1], s[2:3], s[0:1]
	s_sub_i32 s2, s31, s27
	s_cmp_lt_i32 s6, s2
	s_cselect_b64 s[2:3], -1, 0
	s_and_b64 s[10:11], s[0:1], s[2:3]
	s_mov_b64 s[2:3], 0
	s_mov_b64 s[0:1], 0
                                        ; implicit-def: $vgpr0_vgpr1
                                        ; implicit-def: $vgpr2_vgpr3
                                        ; implicit-def: $vgpr4_vgpr5
                                        ; implicit-def: $vgpr6_vgpr7
	s_and_saveexec_b64 s[4:5], s[10:11]
	s_cbranch_execz .LBB0_4
; %bb.3:
	s_sub_i32 s10, s6, s26
	s_sub_i32 s33, s7, s22
	;; [unrolled: 1-line block ×3, first 2 shown]
	s_mul_i32 s11, s37, s10
	s_mul_hi_u32 s35, s36, s10
	v_subrev_u32_e32 v0, s20, v8
	s_ashr_i32 s40, s33, 31
	s_add_i32 s11, s35, s11
	s_mul_i32 s35, s19, s34
	s_mul_hi_u32 s41, s18, s34
	v_ashrrev_i32_e32 v1, 31, v0
	s_add_i32 s35, s41, s35
	s_mul_i32 s40, s16, s40
	s_mul_hi_u32 s41, s16, s33
	s_add_i32 s42, s41, s40
	v_mul_lo_u32 v2, s14, v1
	v_mul_lo_u32 v3, s15, v0
	v_mad_u64_u32 v[0:1], s[40:41], s14, v0, 0
	s_mul_i32 s40, s17, s33
	s_mul_i32 s10, s36, s10
	;; [unrolled: 1-line block ×3, first 2 shown]
	s_add_i32 s41, s42, s40
	s_mul_i32 s40, s16, s33
	v_add3_u32 v1, v1, v2, v3
	v_mov_b32_e32 v6, s10
	v_mov_b32_e32 v4, s34
	;; [unrolled: 1-line block ×3, first 2 shown]
	s_mov_b64 s[0:1], exec
	v_mov_b32_e32 v7, s11
	v_mov_b32_e32 v5, s35
	;; [unrolled: 1-line block ×3, first 2 shown]
.LBB0_4:
	s_or_b64 exec, exec, s[4:5]
	s_and_b64 vcc, exec, s[2:3]
	s_cbranch_vccnz .LBB0_6
	s_branch .LBB0_20
.LBB0_5:
	s_mov_b64 s[0:1], 0
                                        ; implicit-def: $vgpr0_vgpr1
                                        ; implicit-def: $vgpr2_vgpr3
                                        ; implicit-def: $vgpr4_vgpr5
                                        ; implicit-def: $vgpr6_vgpr7
	s_cbranch_execz .LBB0_20
.LBB0_6:
	s_add_i32 s0, s21, s20
	s_sub_i32 s21, s28, s0
	s_ashr_i32 s0, s21, 31
	v_subrev_u32_e32 v0, s20, v8
	v_ashrrev_i32_e32 v1, 31, v0
	v_mov_b32_e32 v3, s0
	v_add_co_u32_e32 v2, vcc, s21, v0
	v_addc_co_u32_e32 v3, vcc, v1, v3, vcc
	v_or_b32_e32 v1, s0, v3
	v_mov_b32_e32 v0, 0
	v_cmp_ne_u64_e32 vcc, 0, v[0:1]
                                        ; implicit-def: $vgpr0_vgpr1
	s_and_saveexec_b64 s[2:3], vcc
	s_xor_b64 s[4:5], exec, s[2:3]
	s_cbranch_execz .LBB0_8
; %bb.7:
	s_ashr_i32 s2, s0, 31
	s_add_u32 s10, s21, s2
	s_mov_b32 s3, s2
	s_addc_u32 s11, s0, s2
	s_xor_b64 s[10:11], s[10:11], s[2:3]
	v_cvt_f32_u32_e32 v0, s10
	v_cvt_f32_u32_e32 v1, s11
	s_sub_u32 s2, 0, s10
	s_subb_u32 s3, 0, s11
	v_ashrrev_i32_e32 v4, 31, v3
	v_madmk_f32 v0, v1, 0x4f800000, v0
	v_rcp_f32_e32 v0, v0
	v_mul_f32_e32 v0, 0x5f7ffffc, v0
	v_mul_f32_e32 v1, 0x2f800000, v0
	v_trunc_f32_e32 v1, v1
	v_madmk_f32 v0, v1, 0xcf800000, v0
	v_cvt_u32_f32_e32 v1, v1
	v_cvt_u32_f32_e32 v0, v0
	v_readfirstlane_b32 s20, v1
	v_readfirstlane_b32 s0, v0
	s_mul_i32 s1, s2, s20
	s_mul_hi_u32 s34, s2, s0
	s_mul_i32 s33, s3, s0
	s_add_i32 s1, s34, s1
	s_add_i32 s1, s1, s33
	s_mul_i32 s35, s2, s0
	s_mul_i32 s34, s0, s1
	s_mul_hi_u32 s40, s0, s35
	s_mul_hi_u32 s33, s0, s1
	s_add_u32 s34, s40, s34
	s_addc_u32 s33, 0, s33
	s_mul_hi_u32 s41, s20, s35
	s_mul_i32 s35, s20, s35
	s_add_u32 s34, s34, s35
	s_mul_hi_u32 s40, s20, s1
	s_addc_u32 s33, s33, s41
	s_addc_u32 s34, s40, 0
	s_mul_i32 s1, s20, s1
	s_add_u32 s1, s33, s1
	s_addc_u32 s33, 0, s34
	s_add_u32 s34, s0, s1
	s_cselect_b64 s[0:1], -1, 0
	s_cmp_lg_u64 s[0:1], 0
	s_addc_u32 s20, s20, s33
	s_mul_i32 s0, s2, s20
	s_mul_hi_u32 s1, s2, s34
	s_add_i32 s0, s1, s0
	s_mul_i32 s3, s3, s34
	s_add_i32 s0, s0, s3
	s_mul_i32 s2, s2, s34
	s_mul_hi_u32 s3, s20, s2
	s_mul_i32 s33, s20, s2
	s_mul_i32 s40, s34, s0
	s_mul_hi_u32 s2, s34, s2
	s_mul_hi_u32 s35, s34, s0
	s_add_u32 s2, s2, s40
	s_addc_u32 s35, 0, s35
	s_add_u32 s2, s2, s33
	s_mul_hi_u32 s1, s20, s0
	s_addc_u32 s2, s35, s3
	s_addc_u32 s1, s1, 0
	s_mul_i32 s0, s20, s0
	s_add_u32 s0, s2, s0
	s_addc_u32 s2, 0, s1
	s_add_u32 s3, s34, s0
	s_cselect_b64 s[0:1], -1, 0
	s_cmp_lg_u64 s[0:1], 0
	v_add_co_u32_e32 v0, vcc, v2, v4
	s_addc_u32 s2, s20, s2
	v_xor_b32_e32 v5, v0, v4
	v_addc_co_u32_e32 v2, vcc, v3, v4, vcc
	v_mad_u64_u32 v[0:1], s[0:1], v5, s2, 0
	v_mul_hi_u32 v3, v5, s3
	v_xor_b32_e32 v6, v2, v4
	v_add_co_u32_e32 v7, vcc, v3, v0
	v_addc_co_u32_e32 v9, vcc, 0, v1, vcc
	v_mad_u64_u32 v[0:1], s[0:1], v6, s3, 0
	v_mad_u64_u32 v[2:3], s[0:1], v6, s2, 0
	v_add_co_u32_e32 v0, vcc, v7, v0
	v_addc_co_u32_e32 v0, vcc, v9, v1, vcc
	v_addc_co_u32_e32 v1, vcc, 0, v3, vcc
	v_add_co_u32_e32 v0, vcc, v0, v2
	v_addc_co_u32_e32 v1, vcc, 0, v1, vcc
	v_mul_lo_u32 v2, s11, v0
	v_mul_lo_u32 v3, s10, v1
	v_mad_u64_u32 v[0:1], s[0:1], s10, v0, 0
	v_add3_u32 v1, v1, v3, v2
	v_sub_u32_e32 v2, v6, v1
	v_mov_b32_e32 v3, s11
	v_sub_co_u32_e32 v0, vcc, v5, v0
	v_subb_co_u32_e64 v2, s[0:1], v2, v3, vcc
	v_subrev_co_u32_e64 v5, s[0:1], s10, v0
	v_subbrev_co_u32_e64 v7, s[2:3], 0, v2, s[0:1]
	v_cmp_le_u32_e64 s[2:3], s11, v7
	v_cndmask_b32_e64 v9, 0, -1, s[2:3]
	v_cmp_le_u32_e64 s[2:3], s10, v5
	v_subb_co_u32_e64 v2, s[0:1], v2, v3, s[0:1]
	v_cndmask_b32_e64 v10, 0, -1, s[2:3]
	v_cmp_eq_u32_e64 s[2:3], s11, v7
	v_subrev_co_u32_e64 v3, s[0:1], s10, v5
	v_subb_co_u32_e32 v1, vcc, v6, v1, vcc
	v_cndmask_b32_e64 v9, v9, v10, s[2:3]
	v_subbrev_co_u32_e64 v2, s[0:1], 0, v2, s[0:1]
	v_cmp_le_u32_e32 vcc, s11, v1
	v_cmp_ne_u32_e64 s[0:1], 0, v9
	v_cndmask_b32_e64 v6, 0, -1, vcc
	v_cmp_le_u32_e32 vcc, s10, v0
	v_cndmask_b32_e64 v2, v7, v2, s[0:1]
	v_cndmask_b32_e64 v7, 0, -1, vcc
	v_cmp_eq_u32_e32 vcc, s11, v1
	v_cndmask_b32_e32 v6, v6, v7, vcc
	v_cmp_ne_u32_e32 vcc, 0, v6
	v_cndmask_b32_e32 v1, v1, v2, vcc
	v_cndmask_b32_e64 v2, v5, v3, s[0:1]
	v_cndmask_b32_e32 v0, v0, v2, vcc
	v_xor_b32_e32 v0, v0, v4
	v_xor_b32_e32 v1, v1, v4
	v_sub_co_u32_e32 v0, vcc, v0, v4
	v_subb_co_u32_e32 v1, vcc, v1, v4, vcc
                                        ; implicit-def: $vgpr2
.LBB0_8:
	s_andn2_saveexec_b64 s[0:1], s[4:5]
	s_cbranch_execz .LBB0_10
; %bb.9:
	v_cvt_f32_u32_e32 v0, s21
	s_sub_i32 s2, 0, s21
	v_rcp_iflag_f32_e32 v0, v0
	v_mul_f32_e32 v0, 0x4f7ffffe, v0
	v_cvt_u32_f32_e32 v0, v0
	v_mul_lo_u32 v1, s2, v0
	v_mul_hi_u32 v1, v0, v1
	v_add_u32_e32 v0, v0, v1
	v_mul_hi_u32 v0, v2, v0
	v_mul_lo_u32 v0, v0, s21
	v_sub_u32_e32 v0, v2, v0
	v_subrev_u32_e32 v1, s21, v0
	v_cmp_le_u32_e32 vcc, s21, v0
	v_cndmask_b32_e32 v0, v0, v1, vcc
	v_subrev_u32_e32 v1, s21, v0
	v_cmp_le_u32_e32 vcc, s21, v0
	v_cndmask_b32_e32 v0, v0, v1, vcc
	v_mov_b32_e32 v1, 0
.LBB0_10:
	s_or_b64 exec, exec, s[0:1]
	s_add_i32 s0, s23, s22
	s_sub_i32 s2, s29, s0
	s_sub_i32 s0, s7, s22
	s_ashr_i32 s3, s2, 31
	s_ashr_i32 s1, s0, 31
	s_add_u32 s4, s2, s0
	s_addc_u32 s5, s3, s1
	s_or_b64 s[0:1], s[4:5], s[2:3]
	s_mov_b32 s0, 0
	s_cmp_lg_u64 s[0:1], 0
	s_cbranch_scc0 .LBB0_24
; %bb.11:
	s_ashr_i32 s0, s3, 31
	s_add_u32 s10, s2, s0
	s_mov_b32 s1, s0
	s_addc_u32 s11, s3, s0
	s_xor_b64 s[0:1], s[10:11], s[0:1]
	v_cvt_f32_u32_e32 v2, s0
	v_cvt_f32_u32_e32 v3, s1
	s_sub_u32 s3, 0, s0
	s_subb_u32 s22, 0, s1
	v_madmk_f32 v2, v3, 0x4f800000, v2
	v_rcp_f32_e32 v2, v2
	v_mul_f32_e32 v2, 0x5f7ffffc, v2
	v_mul_f32_e32 v3, 0x2f800000, v2
	v_trunc_f32_e32 v3, v3
	v_madmk_f32 v2, v3, 0xcf800000, v2
	v_cvt_u32_f32_e32 v3, v3
	v_cvt_u32_f32_e32 v2, v2
	v_readfirstlane_b32 s23, v3
	v_readfirstlane_b32 s20, v2
	s_mul_i32 s21, s3, s23
	s_mul_hi_u32 s34, s3, s20
	s_mul_i32 s33, s22, s20
	s_add_i32 s21, s34, s21
	s_add_i32 s21, s21, s33
	s_mul_i32 s35, s3, s20
	s_mul_i32 s34, s20, s21
	s_mul_hi_u32 s40, s20, s35
	s_mul_hi_u32 s33, s20, s21
	s_add_u32 s34, s40, s34
	s_addc_u32 s33, 0, s33
	s_mul_hi_u32 s41, s23, s35
	s_mul_i32 s35, s23, s35
	s_add_u32 s34, s34, s35
	s_mul_hi_u32 s40, s23, s21
	s_addc_u32 s33, s33, s41
	s_addc_u32 s34, s40, 0
	s_mul_i32 s21, s23, s21
	s_add_u32 s21, s33, s21
	s_addc_u32 s33, 0, s34
	s_add_u32 s34, s20, s21
	s_cselect_b64 s[20:21], -1, 0
	s_cmp_lg_u64 s[20:21], 0
	s_addc_u32 s23, s23, s33
	s_mul_i32 s20, s3, s23
	s_mul_hi_u32 s21, s3, s34
	s_add_i32 s20, s21, s20
	s_mul_i32 s22, s22, s34
	s_add_i32 s20, s20, s22
	s_mul_i32 s3, s3, s34
	s_mul_hi_u32 s22, s23, s3
	s_mul_i32 s33, s23, s3
	s_mul_i32 s40, s34, s20
	s_mul_hi_u32 s3, s34, s3
	s_mul_hi_u32 s35, s34, s20
	s_add_u32 s3, s3, s40
	s_addc_u32 s35, 0, s35
	s_add_u32 s3, s3, s33
	s_mul_hi_u32 s21, s23, s20
	s_addc_u32 s3, s35, s22
	s_addc_u32 s21, s21, 0
	s_mul_i32 s20, s23, s20
	s_add_u32 s3, s3, s20
	s_addc_u32 s22, 0, s21
	s_add_u32 s3, s34, s3
	s_cselect_b64 s[20:21], -1, 0
	s_cmp_lg_u64 s[20:21], 0
	s_addc_u32 s33, s23, s22
	s_ashr_i32 s20, s5, 31
	s_add_u32 s22, s4, s20
	s_mov_b32 s21, s20
	s_addc_u32 s23, s5, s20
	s_xor_b64 s[22:23], s[22:23], s[20:21]
	s_mul_i32 s34, s22, s33
	s_mul_hi_u32 s35, s22, s3
	s_mul_hi_u32 s5, s22, s33
	s_add_u32 s34, s35, s34
	s_addc_u32 s5, 0, s5
	s_mul_hi_u32 s40, s23, s3
	s_mul_i32 s3, s23, s3
	s_add_u32 s3, s34, s3
	s_mul_hi_u32 s35, s23, s33
	s_addc_u32 s3, s5, s40
	s_addc_u32 s5, s35, 0
	s_mul_i32 s33, s23, s33
	s_add_u32 s3, s3, s33
	s_addc_u32 s5, 0, s5
	s_mul_i32 s5, s0, s5
	s_mul_hi_u32 s33, s0, s3
	s_add_i32 s5, s33, s5
	s_mul_i32 s33, s1, s3
	s_add_i32 s5, s5, s33
	s_sub_i32 s33, s23, s5
	s_mul_i32 s3, s0, s3
	s_sub_u32 s3, s22, s3
	s_cselect_b64 s[34:35], -1, 0
	s_cmp_lg_u64 s[34:35], 0
	s_subb_u32 s22, s33, s1
	s_sub_u32 s33, s3, s0
	s_cselect_b64 s[40:41], -1, 0
	s_cmp_lg_u64 s[40:41], 0
	s_subb_u32 s42, s22, 0
	s_cmp_ge_u32 s42, s1
	s_cselect_b32 s43, -1, 0
	s_cmp_ge_u32 s33, s0
	s_cselect_b32 s44, -1, 0
	s_cmp_eq_u32 s42, s1
	s_cselect_b32 s43, s44, s43
	s_cmp_lg_u64 s[40:41], 0
	s_subb_u32 s22, s22, s1
	s_sub_u32 s44, s33, s0
	s_cselect_b64 s[40:41], -1, 0
	s_cmp_lg_u64 s[40:41], 0
	s_subb_u32 s22, s22, 0
	s_cmp_lg_u32 s43, 0
	s_cselect_b32 s33, s44, s33
	s_cselect_b32 s22, s22, s42
	s_cmp_lg_u64 s[34:35], 0
	s_subb_u32 s5, s23, s5
	s_cmp_ge_u32 s5, s1
	s_cselect_b32 s23, -1, 0
	s_cmp_ge_u32 s3, s0
	s_cselect_b32 s0, -1, 0
	s_cmp_eq_u32 s5, s1
	s_cselect_b32 s0, s0, s23
	s_cmp_lg_u32 s0, 0
	s_cselect_b32 s1, s22, s5
	s_cselect_b32 s0, s33, s3
	s_xor_b64 s[0:1], s[0:1], s[20:21]
	s_sub_u32 s0, s0, s20
	s_subb_u32 s1, s1, s20
	s_cbranch_execnz .LBB0_13
.LBB0_12:
	v_cvt_f32_u32_e32 v2, s2
	s_sub_i32 s0, 0, s2
	s_mov_b32 s1, 0
	v_rcp_iflag_f32_e32 v2, v2
	v_mul_f32_e32 v2, 0x4f7ffffe, v2
	v_cvt_u32_f32_e32 v2, v2
	v_readfirstlane_b32 s3, v2
	s_mul_i32 s0, s0, s3
	s_mul_hi_u32 s0, s3, s0
	s_add_i32 s3, s3, s0
	s_mul_hi_u32 s0, s4, s3
	s_mul_i32 s0, s0, s2
	s_sub_i32 s0, s4, s0
	s_sub_i32 s3, s0, s2
	s_cmp_ge_u32 s0, s2
	s_cselect_b32 s0, s3, s0
	s_sub_i32 s3, s0, s2
	s_cmp_ge_u32 s0, s2
	s_cselect_b32 s0, s3, s0
.LBB0_13:
	s_add_i32 s2, s25, s24
	s_sub_i32 s4, s30, s2
	s_sub_i32 s2, s9, s24
	s_ashr_i32 s5, s4, 31
	s_ashr_i32 s3, s2, 31
	s_add_u32 s10, s2, s4
	s_addc_u32 s11, s3, s5
	s_or_b64 s[2:3], s[10:11], s[4:5]
	s_mov_b32 s2, 0
	s_cmp_lg_u64 s[2:3], 0
	s_cbranch_scc0 .LBB0_25
; %bb.14:
	s_ashr_i32 s2, s5, 31
	s_add_u32 s20, s4, s2
	s_mov_b32 s3, s2
	s_addc_u32 s21, s5, s2
	s_xor_b64 s[2:3], s[20:21], s[2:3]
	v_cvt_f32_u32_e32 v2, s2
	v_cvt_f32_u32_e32 v3, s3
	s_sub_u32 s5, 0, s2
	s_subb_u32 s9, 0, s3
	v_madmk_f32 v2, v3, 0x4f800000, v2
	v_rcp_f32_e32 v2, v2
	v_mul_f32_e32 v2, 0x5f7ffffc, v2
	v_mul_f32_e32 v3, 0x2f800000, v2
	v_trunc_f32_e32 v3, v3
	v_madmk_f32 v2, v3, 0xcf800000, v2
	v_cvt_u32_f32_e32 v3, v3
	v_cvt_u32_f32_e32 v2, v2
	v_readfirstlane_b32 s24, v3
	v_readfirstlane_b32 s22, v2
	s_mul_i32 s23, s5, s24
	s_mul_hi_u32 s30, s5, s22
	s_mul_i32 s25, s9, s22
	s_add_i32 s23, s30, s23
	s_add_i32 s23, s23, s25
	s_mul_i32 s33, s5, s22
	s_mul_i32 s30, s22, s23
	s_mul_hi_u32 s34, s22, s33
	s_mul_hi_u32 s25, s22, s23
	s_add_u32 s30, s34, s30
	s_addc_u32 s25, 0, s25
	s_mul_hi_u32 s35, s24, s33
	s_mul_i32 s33, s24, s33
	s_add_u32 s30, s30, s33
	s_mul_hi_u32 s34, s24, s23
	s_addc_u32 s25, s25, s35
	s_addc_u32 s30, s34, 0
	s_mul_i32 s23, s24, s23
	s_add_u32 s23, s25, s23
	s_addc_u32 s25, 0, s30
	s_add_u32 s30, s22, s23
	s_cselect_b64 s[22:23], -1, 0
	s_cmp_lg_u64 s[22:23], 0
	s_addc_u32 s24, s24, s25
	s_mul_i32 s22, s5, s24
	s_mul_hi_u32 s23, s5, s30
	s_add_i32 s22, s23, s22
	s_mul_i32 s9, s9, s30
	s_add_i32 s22, s22, s9
	s_mul_i32 s5, s5, s30
	s_mul_hi_u32 s23, s24, s5
	s_mul_i32 s25, s24, s5
	s_mul_i32 s34, s30, s22
	s_mul_hi_u32 s5, s30, s5
	s_mul_hi_u32 s33, s30, s22
	s_add_u32 s5, s5, s34
	s_addc_u32 s33, 0, s33
	s_add_u32 s5, s5, s25
	s_mul_hi_u32 s9, s24, s22
	s_addc_u32 s5, s33, s23
	s_addc_u32 s9, s9, 0
	s_mul_i32 s22, s24, s22
	s_add_u32 s5, s5, s22
	s_addc_u32 s9, 0, s9
	s_add_u32 s5, s30, s5
	s_cselect_b64 s[22:23], -1, 0
	s_cmp_lg_u64 s[22:23], 0
	s_addc_u32 s9, s24, s9
	s_ashr_i32 s22, s11, 31
	s_add_u32 s24, s10, s22
	s_mov_b32 s23, s22
	s_addc_u32 s25, s11, s22
	s_xor_b64 s[24:25], s[24:25], s[22:23]
	s_mul_i32 s30, s24, s9
	s_mul_hi_u32 s33, s24, s5
	s_mul_hi_u32 s11, s24, s9
	s_add_u32 s30, s33, s30
	s_addc_u32 s11, 0, s11
	s_mul_hi_u32 s34, s25, s5
	s_mul_i32 s5, s25, s5
	s_add_u32 s5, s30, s5
	s_mul_hi_u32 s33, s25, s9
	s_addc_u32 s5, s11, s34
	s_addc_u32 s11, s33, 0
	s_mul_i32 s9, s25, s9
	s_add_u32 s5, s5, s9
	s_addc_u32 s9, 0, s11
	s_mul_i32 s9, s2, s9
	s_mul_hi_u32 s11, s2, s5
	s_add_i32 s9, s11, s9
	s_mul_i32 s11, s3, s5
	s_add_i32 s9, s9, s11
	s_sub_i32 s11, s25, s9
	s_mul_i32 s5, s2, s5
	s_sub_u32 s5, s24, s5
	s_cselect_b64 s[34:35], -1, 0
	s_cmp_lg_u64 s[34:35], 0
	s_subb_u32 s11, s11, s3
	s_sub_u32 s24, s5, s2
	s_cselect_b64 s[40:41], -1, 0
	s_cmp_lg_u64 s[40:41], 0
	s_subb_u32 s30, s11, 0
	s_cmp_ge_u32 s30, s3
	s_cselect_b32 s33, -1, 0
	s_cmp_ge_u32 s24, s2
	s_cselect_b32 s42, -1, 0
	s_cmp_eq_u32 s30, s3
	s_cselect_b32 s33, s42, s33
	s_cmp_lg_u64 s[40:41], 0
	s_subb_u32 s11, s11, s3
	s_sub_u32 s42, s24, s2
	s_cselect_b64 s[40:41], -1, 0
	s_cmp_lg_u64 s[40:41], 0
	s_subb_u32 s11, s11, 0
	s_cmp_lg_u32 s33, 0
	s_cselect_b32 s24, s42, s24
	s_cselect_b32 s11, s11, s30
	s_cmp_lg_u64 s[34:35], 0
	s_subb_u32 s9, s25, s9
	s_cmp_ge_u32 s9, s3
	s_cselect_b32 s25, -1, 0
	s_cmp_ge_u32 s5, s2
	s_cselect_b32 s2, -1, 0
	s_cmp_eq_u32 s9, s3
	s_cselect_b32 s2, s2, s25
	s_cmp_lg_u32 s2, 0
	s_cselect_b32 s3, s11, s9
	s_cselect_b32 s2, s24, s5
	s_xor_b64 s[2:3], s[2:3], s[22:23]
	s_sub_u32 s2, s2, s22
	s_subb_u32 s3, s3, s22
	s_cbranch_execnz .LBB0_16
.LBB0_15:
	v_cvt_f32_u32_e32 v2, s4
	s_sub_i32 s2, 0, s4
	s_mov_b32 s3, 0
	v_rcp_iflag_f32_e32 v2, v2
	v_mul_f32_e32 v2, 0x4f7ffffe, v2
	v_cvt_u32_f32_e32 v2, v2
	v_readfirstlane_b32 s5, v2
	s_mul_i32 s2, s2, s5
	s_mul_hi_u32 s2, s5, s2
	s_add_i32 s5, s5, s2
	s_mul_hi_u32 s2, s10, s5
	s_mul_i32 s2, s2, s4
	s_sub_i32 s2, s10, s2
	s_sub_i32 s5, s2, s4
	s_cmp_ge_u32 s2, s4
	s_cselect_b32 s2, s5, s2
	s_sub_i32 s5, s2, s4
	s_cmp_ge_u32 s2, s4
	s_cselect_b32 s2, s5, s2
.LBB0_16:
	s_add_i32 s4, s27, s26
	s_sub_i32 s4, s31, s4
	s_sub_i32 s6, s6, s26
	s_ashr_i32 s5, s4, 31
	s_ashr_i32 s9, s6, 31
	s_add_u32 s10, s6, s4
	s_addc_u32 s11, s9, s5
	s_or_b64 s[20:21], s[10:11], s[4:5]
	s_mov_b32 s20, 0
	s_cmp_lg_u64 s[20:21], 0
	s_cbranch_scc0 .LBB0_26
; %bb.17:
	s_ashr_i32 s20, s5, 31
	s_add_u32 s22, s4, s20
	s_mov_b32 s21, s20
	s_addc_u32 s23, s5, s20
	s_xor_b64 s[22:23], s[22:23], s[20:21]
	v_cvt_f32_u32_e32 v2, s22
	v_cvt_f32_u32_e32 v3, s23
	s_sub_u32 s5, 0, s22
	s_subb_u32 s6, 0, s23
	v_madmk_f32 v2, v3, 0x4f800000, v2
	v_rcp_f32_e32 v2, v2
	v_mul_f32_e32 v2, 0x5f7ffffc, v2
	v_mul_f32_e32 v3, 0x2f800000, v2
	v_trunc_f32_e32 v3, v3
	v_madmk_f32 v2, v3, 0xcf800000, v2
	v_cvt_u32_f32_e32 v3, v3
	v_cvt_u32_f32_e32 v2, v2
	v_readfirstlane_b32 s9, v3
	v_readfirstlane_b32 s24, v2
	s_mul_i32 s25, s5, s9
	s_mul_hi_u32 s27, s5, s24
	s_mul_i32 s26, s6, s24
	s_add_i32 s25, s27, s25
	s_add_i32 s25, s25, s26
	s_mul_i32 s30, s5, s24
	s_mul_i32 s27, s24, s25
	s_mul_hi_u32 s31, s24, s30
	s_mul_hi_u32 s26, s24, s25
	s_add_u32 s27, s31, s27
	s_addc_u32 s26, 0, s26
	s_mul_hi_u32 s33, s9, s30
	s_mul_i32 s30, s9, s30
	s_add_u32 s27, s27, s30
	s_mul_hi_u32 s31, s9, s25
	s_addc_u32 s26, s26, s33
	s_addc_u32 s27, s31, 0
	s_mul_i32 s25, s9, s25
	s_add_u32 s25, s26, s25
	s_addc_u32 s26, 0, s27
	s_add_u32 s27, s24, s25
	s_cselect_b64 s[24:25], -1, 0
	s_cmp_lg_u64 s[24:25], 0
	s_addc_u32 s9, s9, s26
	s_mul_i32 s24, s5, s9
	s_mul_hi_u32 s25, s5, s27
	s_add_i32 s24, s25, s24
	s_mul_i32 s6, s6, s27
	s_add_i32 s24, s24, s6
	s_mul_i32 s5, s5, s27
	s_mul_hi_u32 s25, s9, s5
	s_mul_i32 s26, s9, s5
	s_mul_i32 s31, s27, s24
	s_mul_hi_u32 s5, s27, s5
	s_mul_hi_u32 s30, s27, s24
	s_add_u32 s5, s5, s31
	s_addc_u32 s30, 0, s30
	s_add_u32 s5, s5, s26
	s_mul_hi_u32 s6, s9, s24
	s_addc_u32 s5, s30, s25
	s_addc_u32 s6, s6, 0
	s_mul_i32 s24, s9, s24
	s_add_u32 s5, s5, s24
	s_addc_u32 s6, 0, s6
	s_add_u32 s5, s27, s5
	s_cselect_b64 s[24:25], -1, 0
	s_cmp_lg_u64 s[24:25], 0
	s_addc_u32 s6, s9, s6
	s_ashr_i32 s24, s11, 31
	s_add_u32 s26, s10, s24
	s_mov_b32 s25, s24
	s_addc_u32 s27, s11, s24
	s_xor_b64 s[26:27], s[26:27], s[24:25]
	s_mul_i32 s11, s26, s6
	s_mul_hi_u32 s30, s26, s5
	s_mul_hi_u32 s9, s26, s6
	s_add_u32 s11, s30, s11
	s_addc_u32 s9, 0, s9
	s_mul_hi_u32 s31, s27, s5
	s_mul_i32 s5, s27, s5
	s_add_u32 s5, s11, s5
	s_mul_hi_u32 s30, s27, s6
	s_addc_u32 s5, s9, s31
	s_addc_u32 s9, s30, 0
	s_mul_i32 s6, s27, s6
	s_add_u32 s5, s5, s6
	s_addc_u32 s6, 0, s9
	s_mul_i32 s6, s22, s6
	s_mul_hi_u32 s9, s22, s5
	s_add_i32 s6, s9, s6
	s_mul_i32 s9, s23, s5
	s_add_i32 s6, s6, s9
	s_sub_i32 s9, s27, s6
	s_mul_i32 s5, s22, s5
	s_sub_u32 s5, s26, s5
	s_cselect_b64 s[30:31], -1, 0
	s_cmp_lg_u64 s[30:31], 0
	s_subb_u32 s9, s9, s23
	s_sub_u32 s11, s5, s22
	s_cselect_b64 s[34:35], -1, 0
	s_cmp_lg_u64 s[34:35], 0
	s_subb_u32 s26, s9, 0
	s_cmp_ge_u32 s26, s23
	s_cselect_b32 s33, -1, 0
	s_cmp_ge_u32 s11, s22
	s_cselect_b32 s40, -1, 0
	s_cmp_eq_u32 s26, s23
	s_cselect_b32 s33, s40, s33
	s_cmp_lg_u64 s[34:35], 0
	s_subb_u32 s9, s9, s23
	s_sub_u32 s40, s11, s22
	s_cselect_b64 s[34:35], -1, 0
	s_cmp_lg_u64 s[34:35], 0
	s_subb_u32 s9, s9, 0
	s_cmp_lg_u32 s33, 0
	s_cselect_b32 s11, s40, s11
	s_cselect_b32 s9, s9, s26
	s_cmp_lg_u64 s[30:31], 0
	s_subb_u32 s6, s27, s6
	s_cmp_ge_u32 s6, s23
	s_cselect_b32 s26, -1, 0
	s_cmp_ge_u32 s5, s22
	s_cselect_b32 s22, -1, 0
	s_cmp_eq_u32 s6, s23
	s_cselect_b32 s22, s22, s26
	s_cmp_lg_u32 s22, 0
	s_cselect_b32 s23, s9, s6
	s_cselect_b32 s22, s11, s5
	s_xor_b64 s[22:23], s[22:23], s[24:25]
	s_sub_u32 s22, s22, s24
	s_subb_u32 s23, s23, s24
	s_cbranch_execnz .LBB0_19
.LBB0_18:
	v_cvt_f32_u32_e32 v2, s4
	s_sub_i32 s5, 0, s4
	s_mov_b32 s23, 0
	v_rcp_iflag_f32_e32 v2, v2
	v_mul_f32_e32 v2, 0x4f7ffffe, v2
	v_cvt_u32_f32_e32 v2, v2
	v_readfirstlane_b32 s6, v2
	s_mul_i32 s5, s5, s6
	s_mul_hi_u32 s5, s6, s5
	s_add_i32 s6, s6, s5
	s_mul_hi_u32 s5, s10, s6
	s_mul_i32 s5, s5, s4
	s_sub_i32 s5, s10, s5
	s_sub_i32 s6, s5, s4
	s_cmp_ge_u32 s5, s4
	s_cselect_b32 s5, s6, s5
	s_sub_i32 s6, s5, s4
	s_cmp_ge_u32 s5, s4
	s_cselect_b32 s22, s6, s5
.LBB0_19:
	s_mul_i32 s6, s2, s19
	s_mul_hi_u32 s9, s2, s18
	v_mul_lo_u32 v2, v1, s14
	v_mul_lo_u32 v3, v0, s15
	v_mad_u64_u32 v[0:1], s[10:11], v0, s14, 0
	s_mul_i32 s4, s22, s37
	s_mul_hi_u32 s5, s22, s36
	s_add_i32 s6, s9, s6
	s_mul_i32 s3, s3, s18
	s_add_i32 s4, s5, s4
	s_mul_i32 s5, s23, s36
	;; [unrolled: 2-line block ×3, first 2 shown]
	s_mul_hi_u32 s9, s0, s16
	s_add_i32 s5, s4, s5
	s_add_i32 s6, s9, s6
	s_mul_i32 s1, s1, s16
	s_mul_i32 s10, s0, s16
	s_mul_i32 s4, s22, s36
	s_mul_i32 s2, s2, s18
	s_add_i32 s11, s6, s1
	v_add3_u32 v1, v1, v3, v2
	v_mov_b32_e32 v7, s5
	v_mov_b32_e32 v5, s3
	;; [unrolled: 1-line block ×3, first 2 shown]
	s_mov_b64 s[0:1], -1
	v_mov_b32_e32 v6, s4
	v_mov_b32_e32 v4, s2
	;; [unrolled: 1-line block ×3, first 2 shown]
.LBB0_20:
	v_mov_b32_e32 v9, 0
	s_and_saveexec_b64 s[2:3], s[0:1]
	s_cbranch_execz .LBB0_22
; %bb.21:
	v_lshlrev_b64 v[6:7], 2, v[6:7]
	v_mov_b32_e32 v9, s13
	v_add_co_u32_e32 v6, vcc, s12, v6
	v_lshlrev_b64 v[4:5], 2, v[4:5]
	v_addc_co_u32_e32 v7, vcc, v9, v7, vcc
	v_add_co_u32_e32 v4, vcc, v6, v4
	v_lshlrev_b64 v[2:3], 2, v[2:3]
	v_addc_co_u32_e32 v5, vcc, v7, v5, vcc
	v_add_co_u32_e32 v2, vcc, v4, v2
	v_lshlrev_b64 v[0:1], 2, v[0:1]
	v_addc_co_u32_e32 v3, vcc, v5, v3, vcc
	v_add_co_u32_e32 v0, vcc, v2, v0
	v_addc_co_u32_e32 v1, vcc, v3, v1, vcc
	global_load_dword v9, v[0:1], off
.LBB0_22:
	s_or_b64 exec, exec, s[2:3]
	s_mul_i32 s0, s8, s29
	s_add_i32 s0, s0, s7
	s_mul_i32 s0, s0, s28
	v_add_u32_e32 v0, s0, v8
	v_ashrrev_i32_e32 v1, 31, v0
	v_lshlrev_b64 v[0:1], 2, v[0:1]
	v_mov_b32_e32 v2, s39
	v_add_co_u32_e32 v0, vcc, s38, v0
	v_addc_co_u32_e32 v1, vcc, v2, v1, vcc
	s_waitcnt vmcnt(0)
	global_store_dword v[0:1], v9, off
.LBB0_23:
	s_endpgm
.LBB0_24:
                                        ; implicit-def: $sgpr0_sgpr1
	s_branch .LBB0_12
.LBB0_25:
                                        ; implicit-def: $sgpr2_sgpr3
	s_branch .LBB0_15
.LBB0_26:
                                        ; implicit-def: $sgpr22_sgpr23
	s_branch .LBB0_18
	.section	.rodata,"a",@progbits
	.p2align	6, 0x0
	.amdhsa_kernel _ZL7pad_f32PKfmmmmPfiiiiiiiiiiiib
		.amdhsa_group_segment_fixed_size 0
		.amdhsa_private_segment_fixed_size 0
		.amdhsa_kernarg_size 360
		.amdhsa_user_sgpr_count 6
		.amdhsa_user_sgpr_private_segment_buffer 1
		.amdhsa_user_sgpr_dispatch_ptr 0
		.amdhsa_user_sgpr_queue_ptr 0
		.amdhsa_user_sgpr_kernarg_segment_ptr 1
		.amdhsa_user_sgpr_dispatch_id 0
		.amdhsa_user_sgpr_flat_scratch_init 0
		.amdhsa_user_sgpr_private_segment_size 0
		.amdhsa_uses_dynamic_stack 0
		.amdhsa_system_sgpr_private_segment_wavefront_offset 0
		.amdhsa_system_sgpr_workgroup_id_x 1
		.amdhsa_system_sgpr_workgroup_id_y 1
		.amdhsa_system_sgpr_workgroup_id_z 1
		.amdhsa_system_sgpr_workgroup_info 0
		.amdhsa_system_vgpr_workitem_id 0
		.amdhsa_next_free_vgpr 11
		.amdhsa_next_free_sgpr 45
		.amdhsa_reserve_vcc 1
		.amdhsa_reserve_flat_scratch 0
		.amdhsa_float_round_mode_32 0
		.amdhsa_float_round_mode_16_64 0
		.amdhsa_float_denorm_mode_32 3
		.amdhsa_float_denorm_mode_16_64 3
		.amdhsa_dx10_clamp 1
		.amdhsa_ieee_mode 1
		.amdhsa_fp16_overflow 0
		.amdhsa_exception_fp_ieee_invalid_op 0
		.amdhsa_exception_fp_denorm_src 0
		.amdhsa_exception_fp_ieee_div_zero 0
		.amdhsa_exception_fp_ieee_overflow 0
		.amdhsa_exception_fp_ieee_underflow 0
		.amdhsa_exception_fp_ieee_inexact 0
		.amdhsa_exception_int_div_zero 0
	.end_amdhsa_kernel
	.section	.text._ZL7pad_f32PKfmmmmPfiiiiiiiiiiiib,"axG",@progbits,_ZL7pad_f32PKfmmmmPfiiiiiiiiiiiib,comdat
.Lfunc_end0:
	.size	_ZL7pad_f32PKfmmmmPfiiiiiiiiiiiib, .Lfunc_end0-_ZL7pad_f32PKfmmmmPfiiiiiiiiiiiib
                                        ; -- End function
	.set _ZL7pad_f32PKfmmmmPfiiiiiiiiiiiib.num_vgpr, 11
	.set _ZL7pad_f32PKfmmmmPfiiiiiiiiiiiib.num_agpr, 0
	.set _ZL7pad_f32PKfmmmmPfiiiiiiiiiiiib.numbered_sgpr, 45
	.set _ZL7pad_f32PKfmmmmPfiiiiiiiiiiiib.num_named_barrier, 0
	.set _ZL7pad_f32PKfmmmmPfiiiiiiiiiiiib.private_seg_size, 0
	.set _ZL7pad_f32PKfmmmmPfiiiiiiiiiiiib.uses_vcc, 1
	.set _ZL7pad_f32PKfmmmmPfiiiiiiiiiiiib.uses_flat_scratch, 0
	.set _ZL7pad_f32PKfmmmmPfiiiiiiiiiiiib.has_dyn_sized_stack, 0
	.set _ZL7pad_f32PKfmmmmPfiiiiiiiiiiiib.has_recursion, 0
	.set _ZL7pad_f32PKfmmmmPfiiiiiiiiiiiib.has_indirect_call, 0
	.section	.AMDGPU.csdata,"",@progbits
; Kernel info:
; codeLenInByte = 3580
; TotalNumSgprs: 49
; NumVgprs: 11
; ScratchSize: 0
; MemoryBound: 0
; FloatMode: 240
; IeeeMode: 1
; LDSByteSize: 0 bytes/workgroup (compile time only)
; SGPRBlocks: 6
; VGPRBlocks: 2
; NumSGPRsForWavesPerEU: 49
; NumVGPRsForWavesPerEU: 11
; Occupancy: 10
; WaveLimiterHint : 0
; COMPUTE_PGM_RSRC2:SCRATCH_EN: 0
; COMPUTE_PGM_RSRC2:USER_SGPR: 6
; COMPUTE_PGM_RSRC2:TRAP_HANDLER: 0
; COMPUTE_PGM_RSRC2:TGID_X_EN: 1
; COMPUTE_PGM_RSRC2:TGID_Y_EN: 1
; COMPUTE_PGM_RSRC2:TGID_Z_EN: 1
; COMPUTE_PGM_RSRC2:TIDIG_COMP_CNT: 0
	.section	.AMDGPU.gpr_maximums,"",@progbits
	.set amdgpu.max_num_vgpr, 0
	.set amdgpu.max_num_agpr, 0
	.set amdgpu.max_num_sgpr, 0
	.section	.AMDGPU.csdata,"",@progbits
	.type	__hip_cuid_d4107d1e8e660e76,@object ; @__hip_cuid_d4107d1e8e660e76
	.section	.bss,"aw",@nobits
	.globl	__hip_cuid_d4107d1e8e660e76
__hip_cuid_d4107d1e8e660e76:
	.byte	0                               ; 0x0
	.size	__hip_cuid_d4107d1e8e660e76, 1

	.ident	"AMD clang version 22.0.0git (https://github.com/RadeonOpenCompute/llvm-project roc-7.2.4 26084 f58b06dce1f9c15707c5f808fd002e18c2accf7e)"
	.section	".note.GNU-stack","",@progbits
	.addrsig
	.addrsig_sym __hip_cuid_d4107d1e8e660e76
	.amdgpu_metadata
---
amdhsa.kernels:
  - .args:
      - .address_space:  global
        .offset:         0
        .size:           8
        .value_kind:     global_buffer
      - .offset:         8
        .size:           8
        .value_kind:     by_value
      - .offset:         16
        .size:           8
        .value_kind:     by_value
      - .offset:         24
        .size:           8
        .value_kind:     by_value
      - .offset:         32
        .size:           8
        .value_kind:     by_value
      - .address_space:  global
        .offset:         40
        .size:           8
        .value_kind:     global_buffer
      - .offset:         48
        .size:           4
        .value_kind:     by_value
      - .offset:         52
        .size:           4
        .value_kind:     by_value
      - .offset:         56
        .size:           4
        .value_kind:     by_value
      - .offset:         60
        .size:           4
        .value_kind:     by_value
      - .offset:         64
        .size:           4
        .value_kind:     by_value
      - .offset:         68
        .size:           4
        .value_kind:     by_value
      - .offset:         72
        .size:           4
        .value_kind:     by_value
      - .offset:         76
        .size:           4
        .value_kind:     by_value
      - .offset:         80
        .size:           4
        .value_kind:     by_value
      - .offset:         84
        .size:           4
        .value_kind:     by_value
      - .offset:         88
        .size:           4
        .value_kind:     by_value
      - .offset:         92
        .size:           4
        .value_kind:     by_value
      - .offset:         96
        .size:           1
        .value_kind:     by_value
      - .offset:         104
        .size:           4
        .value_kind:     hidden_block_count_x
      - .offset:         108
        .size:           4
        .value_kind:     hidden_block_count_y
      - .offset:         112
        .size:           4
        .value_kind:     hidden_block_count_z
      - .offset:         116
        .size:           2
        .value_kind:     hidden_group_size_x
      - .offset:         118
        .size:           2
        .value_kind:     hidden_group_size_y
      - .offset:         120
        .size:           2
        .value_kind:     hidden_group_size_z
      - .offset:         122
        .size:           2
        .value_kind:     hidden_remainder_x
      - .offset:         124
        .size:           2
        .value_kind:     hidden_remainder_y
      - .offset:         126
        .size:           2
        .value_kind:     hidden_remainder_z
      - .offset:         144
        .size:           8
        .value_kind:     hidden_global_offset_x
      - .offset:         152
        .size:           8
        .value_kind:     hidden_global_offset_y
      - .offset:         160
        .size:           8
        .value_kind:     hidden_global_offset_z
      - .offset:         168
        .size:           2
        .value_kind:     hidden_grid_dims
    .group_segment_fixed_size: 0
    .kernarg_segment_align: 8
    .kernarg_segment_size: 360
    .language:       OpenCL C
    .language_version:
      - 2
      - 0
    .max_flat_workgroup_size: 1024
    .name:           _ZL7pad_f32PKfmmmmPfiiiiiiiiiiiib
    .private_segment_fixed_size: 0
    .sgpr_count:     49
    .sgpr_spill_count: 0
    .symbol:         _ZL7pad_f32PKfmmmmPfiiiiiiiiiiiib.kd
    .uniform_work_group_size: 1
    .uses_dynamic_stack: false
    .vgpr_count:     11
    .vgpr_spill_count: 0
    .wavefront_size: 64
amdhsa.target:   amdgcn-amd-amdhsa--gfx906
amdhsa.version:
  - 1
  - 2
...

	.end_amdgpu_metadata
